;; amdgpu-corpus repo=ROCm/rocFFT kind=compiled arch=gfx950 opt=O3
	.text
	.amdgcn_target "amdgcn-amd-amdhsa--gfx950"
	.amdhsa_code_object_version 6
	.protected	fft_rtc_fwd_len864_factors_3_6_16_3_wgs_54_tpt_54_halfLds_sp_op_CI_CI_unitstride_sbrr_dirReg ; -- Begin function fft_rtc_fwd_len864_factors_3_6_16_3_wgs_54_tpt_54_halfLds_sp_op_CI_CI_unitstride_sbrr_dirReg
	.globl	fft_rtc_fwd_len864_factors_3_6_16_3_wgs_54_tpt_54_halfLds_sp_op_CI_CI_unitstride_sbrr_dirReg
	.p2align	8
	.type	fft_rtc_fwd_len864_factors_3_6_16_3_wgs_54_tpt_54_halfLds_sp_op_CI_CI_unitstride_sbrr_dirReg,@function
fft_rtc_fwd_len864_factors_3_6_16_3_wgs_54_tpt_54_halfLds_sp_op_CI_CI_unitstride_sbrr_dirReg: ; @fft_rtc_fwd_len864_factors_3_6_16_3_wgs_54_tpt_54_halfLds_sp_op_CI_CI_unitstride_sbrr_dirReg
; %bb.0:
	s_load_dwordx4 s[12:15], s[0:1], 0x58
	s_load_dwordx4 s[8:11], s[0:1], 0x0
	;; [unrolled: 1-line block ×3, first 2 shown]
	v_mul_u32_u24_e32 v1, 0x4be, v0
	v_add_u32_sdwa v10, s2, v1 dst_sel:DWORD dst_unused:UNUSED_PAD src0_sel:DWORD src1_sel:WORD_1
	v_mov_b32_e32 v8, 0
	s_waitcnt lgkmcnt(0)
	v_cmp_lt_u64_e64 s[2:3], s[10:11], 2
	v_mov_b32_e32 v11, v8
	s_and_b64 vcc, exec, s[2:3]
	v_mov_b64_e32 v[2:3], 0
	s_cbranch_vccnz .LBB0_8
; %bb.1:
	s_load_dwordx2 s[2:3], s[0:1], 0x10
	s_add_u32 s16, s6, 8
	s_addc_u32 s17, s7, 0
	s_add_u32 s18, s4, 8
	s_addc_u32 s19, s5, 0
	s_waitcnt lgkmcnt(0)
	s_add_u32 s20, s2, 8
	v_mov_b64_e32 v[2:3], 0
	s_addc_u32 s21, s3, 0
	s_mov_b64 s[22:23], 1
	v_mov_b64_e32 v[4:5], v[2:3]
.LBB0_2:                                ; =>This Inner Loop Header: Depth=1
	s_load_dwordx2 s[24:25], s[20:21], 0x0
                                        ; implicit-def: $vgpr6_vgpr7
	s_waitcnt lgkmcnt(0)
	v_or_b32_e32 v9, s25, v11
	v_cmp_ne_u64_e32 vcc, 0, v[8:9]
	s_and_saveexec_b64 s[2:3], vcc
	s_xor_b64 s[26:27], exec, s[2:3]
	s_cbranch_execz .LBB0_4
; %bb.3:                                ;   in Loop: Header=BB0_2 Depth=1
	v_cvt_f32_u32_e32 v1, s24
	v_cvt_f32_u32_e32 v6, s25
	s_sub_u32 s2, 0, s24
	s_subb_u32 s3, 0, s25
	v_fmac_f32_e32 v1, 0x4f800000, v6
	v_rcp_f32_e32 v1, v1
	s_nop 0
	v_mul_f32_e32 v1, 0x5f7ffffc, v1
	v_mul_f32_e32 v6, 0x2f800000, v1
	v_trunc_f32_e32 v6, v6
	v_fmac_f32_e32 v1, 0xcf800000, v6
	v_cvt_u32_f32_e32 v9, v6
	v_cvt_u32_f32_e32 v1, v1
	v_mul_lo_u32 v6, s2, v9
	v_mul_hi_u32 v12, s2, v1
	v_mul_lo_u32 v7, s3, v1
	v_add_u32_e32 v12, v12, v6
	v_mul_lo_u32 v14, s2, v1
	v_add_u32_e32 v15, v12, v7
	v_mul_hi_u32 v6, v1, v14
	v_mul_hi_u32 v13, v1, v15
	v_mul_lo_u32 v12, v1, v15
	v_mov_b32_e32 v7, v8
	v_lshl_add_u64 v[6:7], v[6:7], 0, v[12:13]
	v_mul_hi_u32 v13, v9, v14
	v_mul_lo_u32 v14, v9, v14
	v_add_co_u32_e32 v6, vcc, v6, v14
	v_mul_hi_u32 v12, v9, v15
	s_nop 0
	v_addc_co_u32_e32 v6, vcc, v7, v13, vcc
	v_mov_b32_e32 v7, v8
	s_nop 0
	v_addc_co_u32_e32 v13, vcc, 0, v12, vcc
	v_mul_lo_u32 v12, v9, v15
	v_lshl_add_u64 v[6:7], v[6:7], 0, v[12:13]
	v_add_co_u32_e32 v1, vcc, v1, v6
	v_mul_lo_u32 v12, s2, v1
	s_nop 0
	v_addc_co_u32_e32 v9, vcc, v9, v7, vcc
	v_mul_lo_u32 v6, s2, v9
	v_mul_hi_u32 v7, s2, v1
	v_add_u32_e32 v6, v7, v6
	v_mul_lo_u32 v7, s3, v1
	v_add_u32_e32 v14, v6, v7
	v_mul_hi_u32 v16, v9, v12
	v_mul_lo_u32 v17, v9, v12
	v_mul_hi_u32 v7, v1, v14
	v_mul_lo_u32 v6, v1, v14
	v_mul_hi_u32 v12, v1, v12
	v_mov_b32_e32 v13, v8
	v_lshl_add_u64 v[6:7], v[12:13], 0, v[6:7]
	v_add_co_u32_e32 v6, vcc, v6, v17
	v_mul_hi_u32 v15, v9, v14
	s_nop 0
	v_addc_co_u32_e32 v6, vcc, v7, v16, vcc
	v_mul_lo_u32 v12, v9, v14
	s_nop 0
	v_addc_co_u32_e32 v13, vcc, 0, v15, vcc
	v_mov_b32_e32 v7, v8
	v_lshl_add_u64 v[6:7], v[6:7], 0, v[12:13]
	v_add_co_u32_e32 v1, vcc, v1, v6
	v_mul_hi_u32 v12, v10, v1
	s_nop 0
	v_addc_co_u32_e32 v9, vcc, v9, v7, vcc
	v_mad_u64_u32 v[6:7], s[2:3], v10, v9, 0
	v_mov_b32_e32 v13, v8
	v_lshl_add_u64 v[6:7], v[12:13], 0, v[6:7]
	v_mad_u64_u32 v[14:15], s[2:3], v11, v1, 0
	v_add_co_u32_e32 v1, vcc, v6, v14
	v_mad_u64_u32 v[12:13], s[2:3], v11, v9, 0
	s_nop 0
	v_addc_co_u32_e32 v6, vcc, v7, v15, vcc
	v_mov_b32_e32 v7, v8
	s_nop 0
	v_addc_co_u32_e32 v13, vcc, 0, v13, vcc
	v_lshl_add_u64 v[6:7], v[6:7], 0, v[12:13]
	v_mul_lo_u32 v1, s25, v6
	v_mul_lo_u32 v9, s24, v7
	v_mad_u64_u32 v[12:13], s[2:3], s24, v6, 0
	v_add3_u32 v1, v13, v9, v1
	v_sub_u32_e32 v9, v11, v1
	v_mov_b32_e32 v13, s25
	v_sub_co_u32_e32 v16, vcc, v10, v12
	v_lshl_add_u64 v[14:15], v[6:7], 0, 1
	s_nop 0
	v_subb_co_u32_e64 v9, s[2:3], v9, v13, vcc
	v_subrev_co_u32_e64 v12, s[2:3], s24, v16
	v_subb_co_u32_e32 v1, vcc, v11, v1, vcc
	s_nop 0
	v_subbrev_co_u32_e64 v9, s[2:3], 0, v9, s[2:3]
	v_cmp_le_u32_e64 s[2:3], s25, v9
	v_cmp_le_u32_e32 vcc, s25, v1
	s_nop 0
	v_cndmask_b32_e64 v13, 0, -1, s[2:3]
	v_cmp_le_u32_e64 s[2:3], s24, v12
	s_nop 1
	v_cndmask_b32_e64 v12, 0, -1, s[2:3]
	v_cmp_eq_u32_e64 s[2:3], s25, v9
	s_nop 1
	v_cndmask_b32_e64 v9, v13, v12, s[2:3]
	v_lshl_add_u64 v[12:13], v[6:7], 0, 2
	v_cmp_ne_u32_e64 s[2:3], 0, v9
	s_nop 1
	v_cndmask_b32_e64 v9, v15, v13, s[2:3]
	v_cndmask_b32_e64 v13, 0, -1, vcc
	v_cmp_le_u32_e32 vcc, s24, v16
	s_nop 1
	v_cndmask_b32_e64 v15, 0, -1, vcc
	v_cmp_eq_u32_e32 vcc, s25, v1
	s_nop 1
	v_cndmask_b32_e32 v1, v13, v15, vcc
	v_cmp_ne_u32_e32 vcc, 0, v1
	v_cndmask_b32_e64 v1, v14, v12, s[2:3]
	s_nop 0
	v_cndmask_b32_e32 v7, v7, v9, vcc
	v_cndmask_b32_e32 v6, v6, v1, vcc
.LBB0_4:                                ;   in Loop: Header=BB0_2 Depth=1
	s_andn2_saveexec_b64 s[2:3], s[26:27]
	s_cbranch_execz .LBB0_6
; %bb.5:                                ;   in Loop: Header=BB0_2 Depth=1
	v_cvt_f32_u32_e32 v1, s24
	s_sub_i32 s26, 0, s24
	v_rcp_iflag_f32_e32 v1, v1
	s_nop 0
	v_mul_f32_e32 v1, 0x4f7ffffe, v1
	v_cvt_u32_f32_e32 v1, v1
	v_mul_lo_u32 v6, s26, v1
	v_mul_hi_u32 v6, v1, v6
	v_add_u32_e32 v1, v1, v6
	v_mul_hi_u32 v1, v10, v1
	v_mul_lo_u32 v6, v1, s24
	v_sub_u32_e32 v6, v10, v6
	v_add_u32_e32 v7, 1, v1
	v_subrev_u32_e32 v9, s24, v6
	v_cmp_le_u32_e32 vcc, s24, v6
	s_nop 1
	v_cndmask_b32_e32 v6, v6, v9, vcc
	v_cndmask_b32_e32 v1, v1, v7, vcc
	v_add_u32_e32 v7, 1, v1
	v_cmp_le_u32_e32 vcc, s24, v6
	s_nop 1
	v_cndmask_b32_e32 v6, v1, v7, vcc
	v_mov_b32_e32 v7, v8
.LBB0_6:                                ;   in Loop: Header=BB0_2 Depth=1
	s_or_b64 exec, exec, s[2:3]
	v_mad_u64_u32 v[12:13], s[2:3], v6, s24, 0
	s_load_dwordx2 s[2:3], s[18:19], 0x0
	v_mul_lo_u32 v1, v7, s24
	v_mul_lo_u32 v9, v6, s25
	s_load_dwordx2 s[24:25], s[16:17], 0x0
	s_add_u32 s22, s22, 1
	v_add3_u32 v1, v13, v9, v1
	v_sub_co_u32_e32 v9, vcc, v10, v12
	s_addc_u32 s23, s23, 0
	s_nop 0
	v_subb_co_u32_e32 v1, vcc, v11, v1, vcc
	s_add_u32 s16, s16, 8
	s_waitcnt lgkmcnt(0)
	v_mul_lo_u32 v10, s2, v1
	v_mul_lo_u32 v11, s3, v9
	v_mad_u64_u32 v[2:3], s[2:3], s2, v9, v[2:3]
	s_addc_u32 s17, s17, 0
	v_add3_u32 v3, v11, v3, v10
	v_mul_lo_u32 v1, s24, v1
	v_mul_lo_u32 v10, s25, v9
	v_mad_u64_u32 v[4:5], s[2:3], s24, v9, v[4:5]
	s_add_u32 s18, s18, 8
	v_add3_u32 v5, v10, v5, v1
	s_addc_u32 s19, s19, 0
	v_mov_b64_e32 v[10:11], s[10:11]
	s_add_u32 s20, s20, 8
	v_cmp_ge_u64_e32 vcc, s[22:23], v[10:11]
	s_addc_u32 s21, s21, 0
	s_cbranch_vccnz .LBB0_9
; %bb.7:                                ;   in Loop: Header=BB0_2 Depth=1
	v_mov_b64_e32 v[10:11], v[6:7]
	s_branch .LBB0_2
.LBB0_8:
	v_mov_b64_e32 v[4:5], v[2:3]
	v_mov_b64_e32 v[6:7], v[10:11]
.LBB0_9:
	s_load_dwordx2 s[2:3], s[0:1], 0x28
	s_lshl_b64 s[16:17], s[10:11], 3
	s_add_u32 s6, s6, s16
	s_addc_u32 s7, s7, s17
                                        ; implicit-def: $vgpr62
	s_waitcnt lgkmcnt(0)
	v_cmp_gt_u64_e64 s[0:1], s[2:3], v[6:7]
	v_cmp_le_u64_e32 vcc, s[2:3], v[6:7]
	s_and_saveexec_b64 s[2:3], vcc
	s_xor_b64 s[2:3], exec, s[2:3]
; %bb.10:
	s_mov_b32 s10, 0x4bda130
	v_mul_hi_u32 v1, v0, s10
	v_mul_u32_u24_e32 v1, 54, v1
	v_sub_u32_e32 v62, v0, v1
                                        ; implicit-def: $vgpr0
                                        ; implicit-def: $vgpr2_vgpr3
; %bb.11:
	s_or_saveexec_b64 s[2:3], s[2:3]
	s_load_dwordx2 s[10:11], s[6:7], 0x0
                                        ; implicit-def: $vgpr25
                                        ; implicit-def: $vgpr11
                                        ; implicit-def: $vgpr14
                                        ; implicit-def: $vgpr18
                                        ; implicit-def: $vgpr44
                                        ; implicit-def: $vgpr46
                                        ; implicit-def: $vgpr72
                                        ; implicit-def: $vgpr48
                                        ; implicit-def: $vgpr38
                                        ; implicit-def: $vgpr34
                                        ; implicit-def: $vgpr70
                                        ; implicit-def: $vgpr36
                                        ; implicit-def: $vgpr30
                                        ; implicit-def: $vgpr28
                                        ; implicit-def: $vgpr66
                                        ; implicit-def: $vgpr40
                                        ; implicit-def: $vgpr22
                                        ; implicit-def: $vgpr26
                                        ; implicit-def: $vgpr64
                                        ; implicit-def: $vgpr32
                                        ; implicit-def: $vgpr20
                                        ; implicit-def: $vgpr63
                                        ; implicit-def: $vgpr60
                                        ; implicit-def: $vgpr16
	s_xor_b64 exec, exec, s[2:3]
	s_cbranch_execz .LBB0_15
; %bb.12:
	s_add_u32 s4, s4, s16
	s_addc_u32 s5, s5, s17
	s_load_dwordx2 s[4:5], s[4:5], 0x0
	s_mov_b32 s6, 0x4bda130
                                        ; implicit-def: $vgpr19
                                        ; implicit-def: $vgpr15
                                        ; implicit-def: $vgpr25
	s_waitcnt lgkmcnt(0)
	v_mul_lo_u32 v1, s5, v6
	v_mul_lo_u32 v10, s4, v7
	v_mad_u64_u32 v[8:9], s[4:5], s4, v6, 0
	v_add3_u32 v9, v9, v10, v1
	v_mul_hi_u32 v1, v0, s6
	v_mul_u32_u24_e32 v1, 54, v1
	v_sub_u32_e32 v62, v0, v1
	v_lshl_add_u64 v[0:1], v[8:9], 3, s[12:13]
	v_lshl_add_u64 v[0:1], v[2:3], 3, v[0:1]
	v_lshlrev_b32_e32 v8, 3, v62
	v_mov_b32_e32 v9, 0
	v_lshl_add_u64 v[2:3], v[0:1], 0, v[8:9]
	s_movk_i32 s4, 0x1000
	v_add_co_u32_e32 v10, vcc, s4, v2
	v_or_b32_e32 v8, 0x1200, v8
	s_nop 0
	v_addc_co_u32_e32 v11, vcc, 0, v3, vcc
	v_lshl_add_u64 v[8:9], v[0:1], 0, v[8:9]
	global_load_dwordx2 v[36:37], v[10:11], off offset:944
	global_load_dwordx2 v[34:35], v[2:3], off offset:2736
	;; [unrolled: 1-line block ×3, first 2 shown]
	global_load_dwordx2 v[44:45], v[2:3], off
	global_load_dwordx2 v[38:39], v[2:3], off offset:432
	global_load_dwordx2 v[30:31], v[2:3], off offset:864
	;; [unrolled: 1-line block ×6, first 2 shown]
	global_load_dwordx2 v[48:49], v[8:9], off
	global_load_dwordx2 v[0:1], v[2:3], off offset:4032
	global_load_dwordx2 v[40:41], v[10:11], off offset:1376
	global_load_dwordx2 v[32:33], v[10:11], off offset:1808
	global_load_dwordx2 v[16:17], v[10:11], off offset:2240
	v_cmp_gt_u32_e32 vcc, 18, v62
                                        ; implicit-def: $vgpr11
	s_and_saveexec_b64 s[4:5], vcc
	s_cbranch_execz .LBB0_14
; %bb.13:
	v_add_co_u32_e32 v8, vcc, 0x1000, v2
	s_nop 1
	v_addc_co_u32_e32 v9, vcc, 0, v3, vcc
	global_load_dwordx2 v[10:11], v[8:9], off offset:2672
	global_load_dwordx2 v[18:19], v[2:3], off offset:2160
	;; [unrolled: 1-line block ×3, first 2 shown]
	s_waitcnt vmcnt(2)
	v_mov_b32_e32 v25, v10
.LBB0_14:
	s_or_b64 exec, exec, s[4:5]
	s_waitcnt vmcnt(6)
	v_mov_b32_e32 v72, v47
	s_waitcnt vmcnt(4)
	v_mov_b32_e32 v73, v49
	v_mov_b32_e32 v70, v35
	;; [unrolled: 1-line block ×4, first 2 shown]
	s_waitcnt vmcnt(2)
	v_mov_b32_e32 v67, v41
	v_mov_b32_e32 v64, v27
	s_waitcnt vmcnt(1)
	v_mov_b32_e32 v65, v33
	v_mov_b32_e32 v63, v0
	;; [unrolled: 1-line block ×3, first 2 shown]
	s_waitcnt vmcnt(0)
	v_mov_b32_e32 v61, v17
.LBB0_15:
	s_or_b64 exec, exec, s[2:3]
	v_add_f32_e32 v0, v48, v46
	v_mul_f32_e32 v47, 0.5, v0
	v_add_f32_e32 v0, v36, v34
	v_mul_f32_e32 v35, 0.5, v0
	;; [unrolled: 2-line block ×4, first 2 shown]
	v_sub_f32_e32 v10, v66, v67
	v_sub_f32_e32 v54, v64, v65
	v_mad_u32_u24 v82, v62, 12, 0
	v_pk_add_f32 v[0:1], v[30:31], v[28:29]
	v_pk_add_f32 v[2:3], v[30:31], v[28:29] op_sel_hi:[0,1] neg_lo:[0,1] neg_hi:[0,1]
	v_pk_add_f32 v[8:9], v[22:23], v[26:27]
	v_pk_add_f32 v[12:13], v[22:23], v[26:27] op_sel_hi:[0,1] neg_lo:[0,1] neg_hi:[0,1]
	v_mov_b32_e32 v1, v3
	v_fmac_f32_e32 v3, 0xbf5db3d7, v10
	v_mov_b32_e32 v9, v13
	v_fmac_f32_e32 v13, 0xbf5db3d7, v54
	v_add_u32_e32 v2, 0x400, v82
	v_sub_f32_e32 v33, v72, v73
	ds_write2_b32 v2, v3, v13 offset0:70 offset1:232
	v_pk_add_f32 v[12:13], v[44:45], v[46:47]
	v_pk_add_f32 v[2:3], v[44:45], v[46:47] op_sel_hi:[0,1] neg_lo:[0,1] neg_hi:[0,1]
	v_pk_add_f32 v[50:51], v[38:39], v[34:35]
	v_pk_add_f32 v[42:43], v[38:39], v[34:35] op_sel_hi:[0,1] neg_lo:[0,1] neg_hi:[0,1]
	v_sub_f32_e32 v27, v70, v71
	v_mul_f32_e32 v41, 0x3f5db3d7, v10
	v_mov_b32_e32 v13, v3
	v_fmac_f32_e32 v3, 0xbf5db3d7, v33
	v_mov_b32_e32 v51, v43
	v_fmac_f32_e32 v43, 0xbf5db3d7, v27
	v_mov_b32_e32 v24, v63
	v_mov_b32_e32 v17, v14
	v_add_u32_e32 v2, 0x510, v82
	v_pk_add_f32 v[0:1], v[0:1], v[40:41]
	ds_write2_b32 v82, v3, v43 offset0:2 offset1:164
	ds_write2_b32 v2, v0, v1 offset1:1
	v_mov_b32_e32 v0, v20
	v_mov_b32_e32 v1, v18
	v_pk_add_f32 v[2:3], v[24:25], v[16:17]
	v_mov_b32_e32 v10, v61
	v_pk_fma_f32 v[0:1], -0.5, v[2:3], v[0:1] op_sel_hi:[0,1,1]
	v_mov_b32_e32 v2, v63
	v_pk_add_f32 v[52:53], v[2:3], v[20:21]
	v_mov_b32_e32 v2, v60
	v_mov_b32_e32 v3, v15
	s_mov_b32 s2, 0x3f5db3d7
	v_pk_add_f32 v[42:43], v[2:3], v[10:11] neg_lo:[0,1] neg_hi:[0,1]
	v_mul_f32_e32 v49, 0x3f5db3d7, v33
	v_pk_mul_f32 v[2:3], v[42:43], s[2:3] op_sel_hi:[1,0]
	v_mul_f32_e32 v37, 0x3f5db3d7, v27
	v_mov_b32_e32 v53, v2
	v_mov_b32_e32 v17, v0
	v_pk_fma_f32 v[2:3], v[42:43], s[2:3], v[0:1] op_sel_hi:[1,0,1] neg_lo:[1,0,0] neg_hi:[1,0,0]
	v_pk_fma_f32 v[42:43], v[42:43], s[2:3], v[0:1] op_sel_hi:[1,0,1]
	v_mul_f32_e32 v33, 0x3f5db3d7, v54
	v_pk_add_f32 v[0:1], v[12:13], v[48:49]
	v_pk_add_f32 v[12:13], v[50:51], v[36:37]
	ds_write2_b32 v82, v0, v1 offset1:1
	v_add_f32_e32 v0, v14, v18
	ds_write2_b32 v82, v12, v13 offset0:162 offset1:163
	v_add_u32_e32 v12, 0x798, v82
	v_pk_add_f32 v[8:9], v[8:9], v[32:33]
	v_add_f32_e32 v10, v25, v0
	v_pk_add_f32 v[0:1], v[52:53], v[16:17]
	ds_write2_b32 v12, v8, v9 offset1:1
	v_add_u32_e32 v8, 0xa20, v82
	v_cmp_lt_u32_e64 s[2:3], 17, v62
	v_cmp_gt_u32_e32 vcc, 18, v62
	ds_write2_b32 v8, v0, v1 offset1:1
	ds_write_b32 v82, v2 offset:2600
	s_and_saveexec_b64 s[4:5], vcc
	s_cbranch_execz .LBB0_17
; %bb.16:
	v_add_u32_e32 v8, 0xca8, v82
	ds_write2_b32 v8, v10, v43 offset1:1
	ds_write_b32 v82, v3 offset:3248
.LBB0_17:
	s_or_b64 exec, exec, s[4:5]
	v_lshlrev_b32_e32 v8, 3, v62
	v_sub_u32_e32 v47, v82, v8
	v_add_u32_e32 v12, 0x400, v47
	s_waitcnt lgkmcnt(0)
	; wave barrier
	s_waitcnt lgkmcnt(0)
	ds_read2_b32 v[8:9], v47 offset1:54
	ds_read2_b32 v[68:69], v47 offset0:144 offset1:198
	ds_read2_b32 v[58:59], v12 offset0:32 offset1:86
	;; [unrolled: 1-line block ×3, first 2 shown]
	v_add_u32_e32 v12, 0x800, v47
	ds_read2_b32 v[54:55], v12 offset0:64 offset1:118
	v_add_u32_e32 v12, 0xa00, v47
	ds_read2_b32 v[50:51], v12 offset0:80 offset1:134
	v_mov_b32_e32 v80, v73
	v_mov_b32_e32 v76, v71
	;; [unrolled: 1-line block ×4, first 2 shown]
	v_cmp_gt_u32_e64 s[4:5], 36, v62
	v_cmp_lt_u32_e64 s[6:7], 35, v62
                                        ; implicit-def: $vgpr12_vgpr13
                                        ; implicit-def: $vgpr56_vgpr57
	s_and_saveexec_b64 s[12:13], s[6:7]
	s_xor_b64 s[12:13], exec, s[12:13]
; %bb.18:
	v_mov_b32_e32 v42, v2
	v_mov_b64_e32 v[12:13], v[0:1]
	v_mov_b64_e32 v[56:57], v[42:43]
; %bb.19:
	s_andn2_saveexec_b64 s[12:13], s[12:13]
	s_cbranch_execz .LBB0_21
; %bb.20:
	v_add_u32_e32 v0, 0x600, v47
	v_add_u32_e32 v2, 0xa00, v47
	ds_read2_b32 v[0:1], v0 offset0:12 offset1:156
	ds_read2_b32 v[42:43], v2 offset0:44 offset1:188
	;; [unrolled: 1-line block ×3, first 2 shown]
	s_waitcnt lgkmcnt(1)
	v_mov_b32_e32 v57, v42
	v_mov_b32_e32 v56, v0
	;; [unrolled: 1-line block ×6, first 2 shown]
	s_waitcnt lgkmcnt(0)
	v_mov_b32_e32 v0, v12
.LBB0_21:
	s_or_b64 exec, exec, s[12:13]
	v_add_f32_e32 v1, v80, v72
	v_mul_f32_e32 v85, 0.5, v1
	v_mov_b32_e32 v84, v72
	v_sub_f32_e32 v1, v46, v48
	v_pk_add_f32 v[72:73], v[44:45], v[72:73] op_sel:[1,0]
	v_pk_add_f32 v[44:45], v[44:45], v[84:85] op_sel:[1,0] neg_lo:[0,1] neg_hi:[0,1]
	v_mul_f32_e32 v81, 0x3f5db3d7, v1
	v_pk_add_f32 v[48:49], v[72:73], v[80:81]
	v_pk_add_f32 v[72:73], v[44:45], v[80:81] neg_lo:[0,1] neg_hi:[0,1]
	v_fmac_f32_e32 v45, 0x3f5db3d7, v1
	v_add_f32_e32 v1, v76, v70
	v_mul_f32_e32 v81, 0.5, v1
	v_mov_b32_e32 v80, v70
	v_sub_f32_e32 v1, v34, v36
	v_pk_add_f32 v[70:71], v[38:39], v[70:71] op_sel:[1,0]
	v_pk_add_f32 v[38:39], v[38:39], v[80:81] op_sel:[1,0] neg_lo:[0,1] neg_hi:[0,1]
	v_mul_f32_e32 v77, 0x3f5db3d7, v1
	v_pk_add_f32 v[36:37], v[38:39], v[76:77] neg_lo:[0,1] neg_hi:[0,1]
	v_fmac_f32_e32 v39, 0x3f5db3d7, v1
	v_add_f32_e32 v1, v78, v66
	v_pk_add_f32 v[34:35], v[70:71], v[76:77]
	v_mul_f32_e32 v71, 0.5, v1
	v_mov_b32_e32 v70, v66
	v_sub_f32_e32 v1, v28, v40
	v_pk_add_f32 v[66:67], v[30:31], v[66:67] op_sel:[1,0]
	v_pk_add_f32 v[30:31], v[30:31], v[70:71] op_sel:[1,0] neg_lo:[0,1] neg_hi:[0,1]
	v_mul_f32_e32 v79, 0x3f5db3d7, v1
	v_pk_add_f32 v[40:41], v[30:31], v[78:79] neg_lo:[0,1] neg_hi:[0,1]
	v_fmac_f32_e32 v31, 0x3f5db3d7, v1
	v_add_f32_e32 v1, v74, v64
	v_pk_add_f32 v[28:29], v[66:67], v[78:79]
	;; [unrolled: 10-line block ×3, first 2 shown]
	v_mul_f32_e32 v65, 0.5, v1
	v_mov_b32_e32 v64, v60
	v_add_f32_e32 v1, v11, v15
	v_pk_add_f32 v[66:67], v[20:21], v[60:61] op_sel:[1,0]
	v_pk_add_f32 v[20:21], v[20:21], v[64:65] neg_lo:[0,1] neg_hi:[0,1]
	v_mul_f32_e32 v64, 0.5, v1
	v_mov_b32_e32 v65, v15
	v_pk_add_f32 v[64:65], v[18:19], v[64:65] op_sel:[1,0] neg_lo:[0,1] neg_hi:[0,1]
	v_pk_add_f32 v[18:19], v[18:19], v[14:15]
	v_mov_b32_e32 v15, v63
	v_mov_b32_e32 v65, v19
	;; [unrolled: 1-line block ×4, first 2 shown]
	s_mov_b32 s12, 0x3f5db3d7
	v_pk_add_f32 v[16:17], v[14:15], v[18:19] neg_lo:[0,1] neg_hi:[0,1]
	v_add_u32_e32 v1, 0x510, v82
	v_pk_mul_f32 v[18:19], v[16:17], s[12:13] op_sel_hi:[1,0]
	v_mov_b32_e32 v67, v21
	v_mov_b32_e32 v14, v61
	;; [unrolled: 1-line block ×5, first 2 shown]
	s_waitcnt lgkmcnt(0)
	; wave barrier
	s_waitcnt lgkmcnt(0)
	ds_write2_b32 v82, v48, v73 offset1:1
	ds_write2_b32 v82, v34, v37 offset0:162 offset1:163
	ds_write2_b32 v82, v45, v39 offset0:2 offset1:164
	ds_write2_b32 v1, v28, v41 offset1:1
	v_add_u32_e32 v1, 0x798, v82
	v_pk_add_f32 v[14:15], v[66:67], v[14:15]
	v_pk_fma_f32 v[20:21], v[16:17], s[12:13], v[20:21] op_sel_hi:[1,0,1] neg_lo:[1,0,0] neg_hi:[1,0,0]
	v_pk_add_f32 v[18:19], v[18:19], v[64:65]
	ds_write2_b32 v1, v26, v33 offset1:1
	v_add_u32_e32 v1, 0x400, v82
	v_add_u32_e32 v11, 0xa20, v82
	ds_write2_b32 v1, v31, v23 offset0:70 offset1:232
	v_mov_b32_e32 v1, v21
	ds_write2_b32 v11, v14, v21 offset1:1
	ds_write_b32 v82, v15 offset:2600
	s_and_saveexec_b64 s[12:13], s[2:3]
	s_xor_b64 s[12:13], exec, s[12:13]
; %bb.22:
                                        ; implicit-def: $vgpr82
; %bb.23:
	s_andn2_saveexec_b64 s[12:13], s[12:13]
	s_cbranch_execz .LBB0_25
; %bb.24:
	v_add_u32_e32 v11, 0xca8, v82
	v_mov_b32_e32 v1, v20
	ds_write2_b32 v11, v19, v20 offset1:1
	ds_write_b32 v82, v18 offset:3248
.LBB0_25:
	s_or_b64 exec, exec, s[12:13]
	v_add_u32_e32 v1, 0x400, v47
	s_waitcnt lgkmcnt(0)
	; wave barrier
	s_waitcnt lgkmcnt(0)
	ds_read2_b32 v[16:17], v47 offset1:54
	ds_read2_b32 v[32:33], v47 offset0:144 offset1:198
	ds_read2_b32 v[28:29], v1 offset0:32 offset1:86
	;; [unrolled: 1-line block ×3, first 2 shown]
	v_add_u32_e32 v1, 0x800, v47
	ds_read2_b32 v[24:25], v1 offset0:64 offset1:118
	v_add_u32_e32 v1, 0xa00, v47
	ds_read2_b32 v[22:23], v1 offset0:80 offset1:134
                                        ; implicit-def: $vgpr30_vgpr31
	s_and_saveexec_b64 s[12:13], s[6:7]
	s_xor_b64 s[6:7], exec, s[12:13]
; %bb.26:
	v_mov_b64_e32 v[30:31], v[14:15]
; %bb.27:
	s_andn2_saveexec_b64 s[6:7], s[6:7]
	s_cbranch_execz .LBB0_29
; %bb.28:
	v_add_u32_e32 v1, 0x600, v47
	ds_read2_b32 v[34:35], v1 offset0:12 offset1:156
	v_add_u32_e32 v1, 0xa00, v47
	ds_read2_b32 v[20:21], v1 offset0:44 offset1:188
	ds_read2_b32 v[14:15], v47 offset0:108 offset1:252
	s_waitcnt lgkmcnt(2)
	v_mov_b32_e32 v31, v34
	s_waitcnt lgkmcnt(1)
	v_mov_b32_e32 v18, v21
	v_mov_b32_e32 v19, v35
	s_waitcnt lgkmcnt(0)
	v_mov_b32_e32 v21, v15
	v_mov_b32_e32 v15, v34
.LBB0_29:
	s_or_b64 exec, exec, s[6:7]
	s_movk_i32 s6, 0xab
	v_mul_lo_u16_sdwa v1, v62, s6 dst_sel:DWORD dst_unused:UNUSED_PAD src0_sel:BYTE_0 src1_sel:DWORD
	v_lshrrev_b16_e32 v63, 9, v1
	v_mul_lo_u16_e32 v1, 3, v63
	v_sub_u16_e32 v78, v62, v1
	v_mov_b32_e32 v36, 5
	v_add_u32_e32 v11, 54, v62
	v_mul_u32_u24_sdwa v1, v78, v36 dst_sel:DWORD dst_unused:UNUSED_PAD src0_sel:BYTE_0 src1_sel:DWORD
	v_mul_lo_u16_sdwa v30, v11, s6 dst_sel:DWORD dst_unused:UNUSED_PAD src0_sel:BYTE_0 src1_sel:DWORD
	v_lshlrev_b32_e32 v1, 3, v1
	v_lshrrev_b16_e32 v79, 9, v30
	global_load_dwordx4 v[38:41], v1, s[8:9]
	v_mul_lo_u16_e32 v30, 3, v79
	v_sub_u16_e32 v80, v11, v30
	v_mul_u32_u24_sdwa v30, v80, v36 dst_sel:DWORD dst_unused:UNUSED_PAD src0_sel:BYTE_0 src1_sel:DWORD
	v_lshlrev_b32_e32 v37, 3, v30
	global_load_dwordx4 v[64:67], v37, s[8:9]
	global_load_dwordx4 v[70:73], v1, s[8:9] offset:16
	global_load_dwordx4 v[74:77], v37, s[8:9] offset:16
	global_load_dwordx2 v[48:49], v1, s[8:9] offset:32
	global_load_dwordx2 v[60:61], v37, s[8:9] offset:32
	s_mov_b32 s16, 0x3f5db3d7
	s_mov_b32 s12, 0xbf5db3d7
	s_mov_b32 s13, 0.5
	s_waitcnt vmcnt(5) lgkmcnt(4)
	v_mul_f32_e32 v30, v32, v39
	v_mul_f32_e32 v34, v68, v39
	s_waitcnt lgkmcnt(3)
	v_mul_f32_e32 v39, v28, v41
	v_mul_f32_e32 v35, v58, v41
	v_fma_f32 v30, v68, v38, -v30
	v_fmac_f32_e32 v34, v32, v38
	v_fma_f32 v38, v58, v40, -v39
	v_add_u32_e32 v58, 0x6c, v62
	v_mul_lo_u16_sdwa v32, v58, s6 dst_sel:DWORD dst_unused:UNUSED_PAD src0_sel:BYTE_0 src1_sel:DWORD
	v_fmac_f32_e32 v35, v28, v40
	s_waitcnt vmcnt(4)
	v_mul_f32_e32 v28, v69, v65
	v_lshrrev_b16_e32 v32, 9, v32
	v_mul_f32_e32 v1, v33, v65
	v_fmac_f32_e32 v28, v33, v64
	v_mul_lo_u16_e32 v33, 3, v32
	v_sub_u16_e32 v33, v58, v33
	v_mul_u32_u24_sdwa v36, v33, v36 dst_sel:DWORD dst_unused:UNUSED_PAD src0_sel:BYTE_0 src1_sel:DWORD
	v_lshlrev_b32_e32 v68, 3, v36
	v_mul_f32_e32 v36, v29, v67
	s_waitcnt vmcnt(3)
	v_mul_f32_e32 v44, v54, v73
	v_fma_f32 v39, v59, v66, -v36
	v_mul_f32_e32 v40, v59, v67
	s_waitcnt lgkmcnt(2)
	v_mul_f32_e32 v36, v26, v71
	v_mul_f32_e32 v42, v52, v71
	s_waitcnt lgkmcnt(1)
	v_mul_f32_e32 v37, v24, v73
	s_waitcnt vmcnt(2)
	v_mul_f32_e32 v46, v27, v75
	v_fmac_f32_e32 v44, v24, v72
	v_mul_f32_e32 v24, v25, v77
	v_fma_f32 v1, v69, v64, -v1
	v_fmac_f32_e32 v40, v29, v66
	v_mul_f32_e32 v29, v53, v75
	v_fma_f32 v59, v52, v70, -v36
	v_fmac_f32_e32 v42, v26, v70
	v_fma_f32 v45, v54, v72, -v37
	v_mul_f32_e32 v41, v55, v77
	v_fma_f32 v69, v53, v74, -v46
	v_fma_f32 v26, v55, v76, -v24
	global_load_dwordx4 v[52:55], v68, s[8:9] offset:16
	global_load_dwordx4 v[64:67], v68, s[8:9]
	s_waitcnt vmcnt(3) lgkmcnt(0)
	v_mul_f32_e32 v46, v22, v49
	s_waitcnt vmcnt(2)
	v_mul_f32_e32 v70, v23, v61
	v_fmac_f32_e32 v29, v27, v74
	v_fmac_f32_e32 v41, v25, v76
	v_mov_b32_e32 v24, v31
	v_mov_b32_e32 v25, v20
	v_mul_f32_e32 v31, v50, v49
	v_mul_f32_e32 v27, v51, v61
	v_fma_f32 v61, v51, v60, -v70
	v_fmac_f32_e32 v31, v22, v48
	v_fmac_f32_e32 v27, v23, v60
	s_mov_b32 s6, -0.5
	s_waitcnt vmcnt(1)
	v_mov_b32_e32 v51, v55
	s_waitcnt vmcnt(0)
	v_mul_f32_e32 v37, v2, v67
	v_fma_f32 v2, v50, v48, -v46
	v_mov_b32_e32 v50, v67
	v_mov_b32_e32 v48, v66
	;; [unrolled: 1-line block ×3, first 2 shown]
	v_pk_mul_f32 v[22:23], v[24:25], v[50:51]
	v_add_f32_e32 v24, v38, v45
	v_pk_fma_f32 v[22:23], v[56:57], v[48:49], v[22:23] neg_lo:[0,0,1] neg_hi:[0,0,1]
	global_load_dwordx2 v[56:57], v68, s[8:9] offset:32
	v_add_f32_e32 v46, v59, v2
	v_mul_f32_e32 v36, v43, v55
	v_fmac_f32_e32 v37, v15, v66
	v_add_f32_e32 v15, v8, v38
	v_add_f32_e32 v43, v30, v59
	v_fma_f32 v8, -0.5, v24, v8
	v_fmac_f32_e32 v30, -0.5, v46
	v_sub_f32_e32 v24, v42, v31
	v_sub_f32_e32 v25, v35, v44
	v_add_f32_e32 v48, v15, v45
	v_fmamk_f32 v15, v24, 0x3f5db3d7, v30
	v_fmac_f32_e32 v30, 0xbf5db3d7, v24
	v_add_f32_e32 v24, v42, v31
	v_fmac_f32_e32 v36, v20, v54
	v_add_f32_e32 v49, v43, v2
	v_fmamk_f32 v54, v25, 0x3f5db3d7, v8
	v_fmac_f32_e32 v8, 0xbf5db3d7, v25
	v_fma_f32 v43, -0.5, v24, v34
	v_sub_f32_e32 v2, v59, v2
	v_pk_mul_f32 v[24:25], v[18:19], v[52:53] op_sel:[1,0]
	v_fmamk_f32 v46, v2, 0xbf5db3d7, v43
	v_fmac_f32_e32 v43, 0x3f5db3d7, v2
	v_pk_fma_f32 v[50:51], v[10:11], v[52:53], v[24:25] op_sel:[0,0,1] op_sel_hi:[1,1,0] neg_lo:[0,0,1] neg_hi:[0,0,1]
	v_pk_fma_f32 v[24:25], v[10:11], v[52:53], v[24:25] op_sel:[0,0,1] op_sel_hi:[0,1,0]
	v_mul_f32_e32 v10, -0.5, v30
	v_mul_f32_e32 v2, 0x3f5db3d7, v46
	v_fmac_f32_e32 v10, 0x3f5db3d7, v43
	v_fmac_f32_e32 v2, 0.5, v15
	v_add_f32_e32 v66, v8, v10
	v_sub_f32_e32 v71, v8, v10
	v_add_f32_e32 v8, v39, v26
	v_add_f32_e32 v60, v54, v2
	v_sub_f32_e32 v70, v54, v2
	v_add_f32_e32 v2, v9, v39
	v_fmac_f32_e32 v9, -0.5, v8
	v_sub_f32_e32 v8, v40, v41
	v_add_f32_e32 v24, v69, v61
	v_pk_mul_f32 v[20:21], v[20:21], v[64:65] op_sel:[1,0]
	v_fmamk_f32 v10, v8, 0x3f5db3d7, v9
	v_fmac_f32_e32 v9, 0xbf5db3d7, v8
	v_add_f32_e32 v8, v1, v69
	v_fmac_f32_e32 v1, -0.5, v24
	v_pk_fma_f32 v[52:53], v[12:13], v[64:65], v[20:21] op_sel:[1,0,1] op_sel_hi:[1,1,0] neg_lo:[0,0,1] neg_hi:[0,0,1]
	v_pk_fma_f32 v[54:55], v[12:13], v[64:65], v[20:21] op_sel:[1,0,1] op_sel_hi:[1,1,0]
	v_sub_f32_e32 v13, v29, v27
	v_fmamk_f32 v21, v13, 0x3f5db3d7, v1
	v_fmac_f32_e32 v1, 0xbf5db3d7, v13
	v_add_f32_e32 v13, v29, v27
	v_add_f32_e32 v2, v2, v26
	;; [unrolled: 1-line block ×3, first 2 shown]
	v_fma_f32 v13, -0.5, v13, v28
	v_sub_f32_e32 v20, v69, v61
	v_add_f32_e32 v59, v48, v49
	v_sub_f32_e32 v67, v48, v49
	v_fmamk_f32 v49, v20, 0xbf5db3d7, v13
	v_fmac_f32_e32 v13, 0x3f5db3d7, v20
	v_add_f32_e32 v54, v2, v8
	v_sub_f32_e32 v64, v2, v8
	v_mul_f32_e32 v2, -0.5, v1
	v_fmac_f32_e32 v2, 0x3f5db3d7, v13
	v_add_f32_e32 v69, v9, v2
	v_sub_f32_e32 v72, v9, v2
	v_add_f32_e32 v2, v22, v23
	v_fmac_f32_e32 v0, -0.5, v2
	v_sub_f32_e32 v2, v37, v36
	v_fmamk_f32 v9, v2, 0x3f5db3d7, v0
	v_fmac_f32_e32 v0, 0xbf5db3d7, v2
	v_mov_b32_e32 v2, v3
	v_mov_b32_e32 v8, v3
	;; [unrolled: 1-line block ×4, first 2 shown]
	v_mul_f32_e32 v20, 0x3f5db3d7, v49
	v_fmac_f32_e32 v20, 0.5, v21
	v_add_f32_e32 v61, v10, v20
	v_sub_f32_e32 v65, v10, v20
	v_mov_b32_e32 v20, v23
	v_mul_u32_u24_e32 v10, 0x48, v63
	s_waitcnt lgkmcnt(0)
	; wave barrier
	s_waitcnt vmcnt(0)
	v_pk_mul_f32 v[18:19], v[18:19], v[56:57] op_sel_hi:[0,1]
	v_pk_fma_f32 v[24:25], v[2:3], v[56:57], v[18:19] op_sel:[0,0,1] op_sel_hi:[1,1,0] neg_lo:[0,0,1] neg_hi:[0,0,1]
	v_pk_fma_f32 v[2:3], v[8:9], v[56:57], v[18:19] op_sel:[0,0,1] op_sel_hi:[0,1,0]
	v_mov_b32_e32 v25, v3
	v_pk_add_f32 v[2:3], v[52:53], v[50:51]
	v_pk_add_f32 v[18:19], v[50:51], v[24:25]
	v_pk_add_f32 v[2:3], v[2:3], v[24:25]
	v_pk_add_f32 v[24:25], v[50:51], v[24:25] neg_lo:[0,1] neg_hi:[0,1]
	v_pk_fma_f32 v[52:53], -0.5, v[18:19], v[52:53] op_sel_hi:[0,1,1]
	v_pk_mul_f32 v[18:19], v[24:25], s[16:17] op_sel_hi:[1,0]
	v_pk_fma_f32 v[24:25], v[24:25], s[16:17], v[52:53] op_sel:[0,0,1] op_sel_hi:[1,0,0]
	v_pk_add_f32 v[18:19], v[52:53], v[18:19] op_sel:[0,1] op_sel_hi:[1,0] neg_lo:[0,1] neg_hi:[0,1]
	v_mov_b32_e32 v52, 2
	v_mul_f32_e32 v23, 0x3f5db3d7, v19
	v_mul_f32_e32 v51, -0.5, v18
	v_fmac_f32_e32 v23, 0.5, v25
	v_fmac_f32_e32 v51, 0x3f5db3d7, v24
	v_lshlrev_b32_sdwa v48, v52, v78 dst_sel:DWORD dst_unused:UNUSED_PAD src0_sel:DWORD src1_sel:BYTE_0
	v_mul_u32_u24_e32 v50, 0x48, v79
	v_lshlrev_b32_sdwa v53, v52, v80 dst_sel:DWORD dst_unused:UNUSED_PAD src0_sel:DWORD src1_sel:BYTE_0
	v_sub_f32_e32 v8, v9, v23
	v_add3_u32 v48, 0, v10, v48
	v_sub_f32_e32 v10, v0, v51
	v_add3_u32 v50, 0, v50, v53
	ds_write2_b32 v48, v59, v60 offset1:3
	ds_write2_b32 v48, v66, v67 offset0:6 offset1:9
	ds_write2_b32 v48, v70, v71 offset0:12 offset1:15
	ds_write2_b32 v50, v54, v61 offset1:3
	ds_write2_b32 v50, v69, v64 offset0:6 offset1:9
	ds_write2_b32 v50, v65, v72 offset0:12 offset1:15
	s_and_saveexec_b64 s[16:17], s[4:5]
	s_cbranch_execz .LBB0_31
; %bb.30:
	v_add_f32_e32 v12, v12, v22
	v_add_f32_e32 v12, v12, v20
	v_sub_f32_e32 v53, v12, v2
	v_add_f32_e32 v9, v9, v23
	v_add_f32_e32 v2, v12, v2
	v_mul_u32_u24_e32 v12, 0x48, v32
	v_lshlrev_b32_sdwa v23, v52, v33 dst_sel:DWORD dst_unused:UNUSED_PAD src0_sel:DWORD src1_sel:BYTE_0
	v_add3_u32 v12, 0, v12, v23
	v_add_f32_e32 v0, v0, v51
	ds_write2_b32 v12, v2, v9 offset1:3
	ds_write2_b32 v12, v0, v53 offset0:6 offset1:9
	ds_write2_b32 v12, v8, v10 offset0:12 offset1:15
.LBB0_31:
	s_or_b64 exec, exec, s[16:17]
	v_add_f32_e32 v2, v35, v44
	v_add_f32_e32 v0, v16, v35
	v_fma_f32 v2, -0.5, v2, v16
	v_sub_f32_e32 v9, v38, v45
	v_mul_f32_e32 v16, -0.5, v43
	v_fmamk_f32 v12, v9, 0xbf5db3d7, v2
	v_fmac_f32_e32 v2, 0x3f5db3d7, v9
	v_add_f32_e32 v9, v34, v42
	v_mul_f32_e32 v15, 0xbf5db3d7, v15
	v_fmac_f32_e32 v16, 0xbf5db3d7, v30
	v_add_f32_e32 v0, v0, v44
	v_add_f32_e32 v9, v9, v31
	v_fmac_f32_e32 v15, 0.5, v46
	v_add_f32_e32 v46, v2, v16
	v_sub_f32_e32 v53, v2, v16
	v_add_f32_e32 v2, v40, v41
	v_add_f32_e32 v44, v0, v9
	v_sub_f32_e32 v51, v0, v9
	v_add_f32_e32 v0, v17, v40
	v_fmac_f32_e32 v17, -0.5, v2
	v_sub_f32_e32 v2, v39, v26
	v_fmamk_f32 v9, v2, 0xbf5db3d7, v17
	v_fmac_f32_e32 v17, 0x3f5db3d7, v2
	v_add_f32_e32 v2, v28, v29
	v_add_f32_e32 v45, v12, v15
	v_sub_f32_e32 v52, v12, v15
	v_add_f32_e32 v0, v0, v41
	v_add_f32_e32 v2, v2, v27
	v_mul_f32_e32 v12, 0xbf5db3d7, v21
	v_add_f32_e32 v39, v0, v2
	v_fmac_f32_e32 v12, 0.5, v49
	v_sub_f32_e32 v49, v0, v2
	v_add_f32_e32 v0, v37, v36
	v_mul_f32_e32 v13, -0.5, v13
	v_fma_f32 v2, -0.5, v0, v14
	v_sub_f32_e32 v0, v22, v20
	v_add_f32_e32 v40, v9, v12
	v_fmac_f32_e32 v13, 0xbf5db3d7, v1
	v_sub_f32_e32 v54, v9, v12
	v_mul_f32_e32 v12, 0x3f5db3d7, v0
	v_add_f32_e32 v41, v17, v13
	v_sub_f32_e32 v55, v17, v13
	v_pk_add_f32 v[0:1], v[2:3], v[12:13]
	v_pk_add_f32 v[12:13], v[2:3], v[12:13] neg_lo:[0,1] neg_hi:[0,1]
	s_mov_b32 s7, s12
	v_lshl_add_u32 v9, v62, 2, 0
	v_mov_b32_e32 v1, v12
	v_pk_mul_f32 v[12:13], v[24:25], s[6:7]
	v_add_u32_e32 v38, 0x200, v9
	v_add_u32_e32 v15, 0x400, v47
	;; [unrolled: 1-line block ×4, first 2 shown]
	v_pk_fma_f32 v[30:31], v[18:19], s[12:13], v[12:13]
	s_waitcnt lgkmcnt(0)
	; wave barrier
	s_waitcnt lgkmcnt(0)
	ds_read2_b32 v[16:17], v47 offset1:54
	ds_read2_b32 v[24:25], v9 offset0:108 offset1:162
	ds_read2_b32 v[34:35], v38 offset0:88 offset1:142
	;; [unrolled: 1-line block ×7, first 2 shown]
	v_pk_add_f32 v[12:13], v[0:1], v[30:31] neg_lo:[0,1] neg_hi:[0,1]
	s_waitcnt lgkmcnt(0)
	; wave barrier
	s_waitcnt lgkmcnt(0)
	ds_write2_b32 v48, v44, v45 offset1:3
	ds_write2_b32 v48, v46, v51 offset0:6 offset1:9
	ds_write2_b32 v48, v52, v53 offset0:12 offset1:15
	ds_write2_b32 v50, v39, v40 offset1:3
	ds_write2_b32 v50, v41, v49 offset0:6 offset1:9
	ds_write2_b32 v50, v54, v55 offset0:12 offset1:15
	s_and_saveexec_b64 s[6:7], s[4:5]
	s_cbranch_execz .LBB0_33
; %bb.32:
	v_add_f32_e32 v2, v14, v37
	v_add_f32_e32 v2, v2, v36
	v_pk_add_f32 v[0:1], v[0:1], v[30:31]
	v_mov_b32_e32 v30, 2
	v_add_f32_e32 v14, v2, v3
	v_sub_f32_e32 v2, v2, v3
	v_mul_u32_u24_e32 v3, 0x48, v32
	v_lshlrev_b32_sdwa v30, v30, v33 dst_sel:DWORD dst_unused:UNUSED_PAD src0_sel:DWORD src1_sel:BYTE_0
	v_add3_u32 v3, 0, v3, v30
	ds_write2_b32 v3, v14, v1 offset1:3
	ds_write2_b32 v3, v0, v2 offset0:6 offset1:9
	ds_write2_b32 v3, v13, v12 offset0:12 offset1:15
.LBB0_33:
	s_or_b64 exec, exec, s[6:7]
	v_mov_b32_e32 v0, 57
	v_mul_lo_u16_sdwa v0, v62, v0 dst_sel:DWORD dst_unused:UNUSED_PAD src0_sel:BYTE_0 src1_sel:DWORD
	v_lshrrev_b16_e32 v14, 10, v0
	v_mul_lo_u16_e32 v0, 18, v14
	v_sub_u16_e32 v59, v62, v0
	v_mov_b32_e32 v0, 15
	v_mul_u32_u24_sdwa v0, v59, v0 dst_sel:DWORD dst_unused:UNUSED_PAD src0_sel:BYTE_0 src1_sel:DWORD
	v_lshlrev_b32_e32 v46, 3, v0
	s_waitcnt lgkmcnt(0)
	; wave barrier
	s_waitcnt lgkmcnt(0)
	global_load_dwordx4 v[48:51], v46, s[8:9] offset:120
	global_load_dwordx4 v[52:55], v46, s[8:9] offset:136
	;; [unrolled: 1-line block ×4, first 2 shown]
	ds_read2_b32 v[32:33], v9 offset0:108 offset1:162
	ds_read2_b32 v[36:37], v38 offset0:88 offset1:142
	;; [unrolled: 1-line block ×3, first 2 shown]
	ds_read2_b32 v[30:31], v47 offset1:54
	v_mov_b32_e32 v44, v34
	s_waitcnt lgkmcnt(3)
	v_mov_b32_e32 v57, v33
	s_waitcnt lgkmcnt(2)
	;; [unrolled: 2-line block ×3, first 2 shown]
	v_mov_b32_e32 v61, v41
	v_mov_b32_e32 v60, v28
	s_mov_b32 s4, 0x3f3504f3
	v_mul_u32_u24_e32 v14, 0x120, v14
	v_or_b32_sdwa v14, v14, v59 dst_sel:DWORD dst_unused:UNUSED_PAD src0_sel:DWORD src1_sel:BYTE_0
	s_waitcnt vmcnt(3)
	v_mov_b32_e32 v68, v51
	s_waitcnt vmcnt(2)
	v_mov_b32_e32 v69, v52
	v_mov_b32_e32 v73, v52
	;; [unrolled: 1-line block ×4, first 2 shown]
	s_waitcnt vmcnt(1)
	v_mul_f32_e32 v56, v37, v65
	v_mov_b32_e32 v51, v53
	v_mul_f32_e32 v38, v36, v55
	v_mov_b32_e32 v37, v35
	v_mov_b32_e32 v55, v65
	s_waitcnt lgkmcnt(0)
	v_mul_f32_e32 v39, v31, v49
	v_mul_f32_e32 v63, v17, v49
	v_pk_mul_f32 v[74:75], v[32:33], v[52:53]
	v_mov_b32_e32 v33, v25
	v_mov_b32_e32 v72, v50
	v_fma_f32 v78, v34, v54, -v38
	v_pk_mul_f32 v[54:55], v[36:37], v[54:55]
	v_fma_f32 v79, v17, v48, -v39
	v_fmac_f32_e32 v63, v31, v48
	v_pk_mul_f32 v[76:77], v[32:33], v[50:51]
	global_load_dwordx4 v[36:39], v46, s[8:9] offset:184
	global_load_dwordx4 v[48:51], v46, s[8:9] offset:200
	v_mov_b32_e32 v71, v64
	v_pk_fma_f32 v[32:33], v[44:45], v[70:71], v[54:55]
	s_waitcnt vmcnt(2)
	v_mov_b32_e32 v45, v0
	v_mov_b32_e32 v71, v0
	;; [unrolled: 1-line block ×5, first 2 shown]
	v_pk_mul_f32 v[0:1], v[40:41], v[0:1]
	v_mov_b32_e32 v41, v29
	v_fma_f32 v31, v35, v64, -v56
	v_pk_mul_f32 v[34:35], v[40:41], v[66:67]
	global_load_dwordx4 v[52:55], v46, s[8:9] offset:216
	global_load_dwordx2 v[40:41], v46, s[8:9] offset:232
	ds_read2_b32 v[64:65], v43 offset0:136 offset1:190
	v_mov_b32_e32 v70, v66
	ds_read2_b32 v[66:67], v43 offset0:28 offset1:82
	v_pk_fma_f32 v[28:29], v[28:29], v[70:71], v[0:1] neg_lo:[0,0,1] neg_hi:[0,0,1]
	v_mov_b32_e32 v56, v24
	v_pk_fma_f32 v[24:25], v[24:25], v[72:73], v[74:75] neg_lo:[0,0,1] neg_hi:[0,0,1]
	v_pk_fma_f32 v[56:57], v[56:57], v[68:69], v[76:77]
	v_pk_fma_f32 v[44:45], v[60:61], v[44:45], v[34:35]
	s_waitcnt lgkmcnt(0)
	v_mov_b32_e32 v71, v67
	v_mov_b32_e32 v70, v22
	;; [unrolled: 1-line block ×4, first 2 shown]
	s_waitcnt vmcnt(3)
	v_mov_b32_e32 v68, v39
	s_waitcnt vmcnt(2)
	v_mul_f32_e32 v0, v64, v51
	v_fma_f32 v46, v20, v50, -v0
	ds_read2_b32 v[0:1], v15 offset0:176 offset1:230
	v_mov_b32_e32 v69, v48
	v_mov_b32_e32 v75, v48
	;; [unrolled: 1-line block ×5, first 2 shown]
	v_pk_mul_f32 v[48:49], v[66:67], v[48:49]
	v_mov_b32_e32 v74, v38
	v_pk_fma_f32 v[48:49], v[22:23], v[74:75], v[48:49] neg_lo:[0,0,1] neg_hi:[0,0,1]
	s_waitcnt vmcnt(1)
	v_mul_f32_e32 v17, v65, v53
	v_mov_b32_e32 v51, v53
	v_mul_f32_e32 v53, v27, v37
	v_mov_b32_e32 v67, v23
	v_mov_b32_e32 v23, v36
	s_waitcnt lgkmcnt(0)
	v_fmac_f32_e32 v53, v1, v36
	v_mov_b32_e32 v36, v3
	v_pk_mul_f32 v[36:37], v[0:1], v[36:37]
	v_mov_b32_e32 v22, v2
	v_pk_fma_f32 v[22:23], v[26:27], v[22:23], v[36:37] neg_lo:[0,0,1] neg_hi:[0,0,1]
	ds_read2_b32 v[36:37], v42 offset0:116 offset1:170
	v_mov_b32_e32 v65, v21
	v_pk_mul_f32 v[50:51], v[64:65], v[50:51]
	v_mov_b32_e32 v35, v52
	v_fma_f32 v60, v21, v52, -v17
	s_waitcnt vmcnt(0)
	v_mov_b32_e32 v21, v40
	v_pk_fma_f32 v[34:35], v[72:73], v[34:35], v[50:51]
	v_mov_b32_e32 v51, v40
	v_mov_b32_e32 v40, v55
	v_sub_f32_e32 v61, v63, v53
	v_mov_b32_e32 v50, v54
	s_waitcnt lgkmcnt(0)
	v_pk_mul_f32 v[52:53], v[36:37], v[40:41]
	v_mov_b32_e32 v20, v55
	v_pk_fma_f32 v[50:51], v[18:19], v[50:51], v[52:53] neg_lo:[0,0,1] neg_hi:[0,0,1]
	v_mov_b32_e32 v53, v37
	v_mov_b32_e32 v37, v19
	;; [unrolled: 1-line block ×4, first 2 shown]
	v_pk_mul_f32 v[18:19], v[36:37], v[54:55]
	v_pk_mul_f32 v[38:39], v[66:67], v[38:39]
	v_pk_fma_f32 v[18:19], v[52:53], v[20:21], v[18:19]
	v_mov_b32_e32 v17, v79
	v_pk_fma_f32 v[38:39], v[70:71], v[68:69], v[38:39]
	v_pk_add_f32 v[20:21], v[16:17], v[22:23] neg_lo:[0,1] neg_hi:[0,1]
	v_pk_add_f32 v[18:19], v[44:45], v[18:19] neg_lo:[0,1] neg_hi:[0,1]
	v_fma_f32 v40, v16, 2.0, -v20
	v_pk_add_f32 v[16:17], v[24:25], v[48:49] neg_lo:[0,1] neg_hi:[0,1]
	v_pk_add_f32 v[22:23], v[56:57], v[38:39] neg_lo:[0,1] neg_hi:[0,1]
	;; [unrolled: 1-line block ×3, first 2 shown]
	v_fma_f32 v38, v44, 2.0, -v18
	v_sub_f32_e32 v44, v31, v60
	v_sub_f32_e32 v1, v78, v46
	v_pk_add_f32 v[34:35], v[32:33], v[34:35] neg_lo:[0,1] neg_hi:[0,1]
	v_fma_f32 v46, v24, 2.0, -v16
	v_fma_f32 v28, v28, 2.0, -v36
	;; [unrolled: 1-line block ×12, first 2 shown]
	v_pk_add_f32 v[24:25], v[20:21], v[34:35] neg_lo:[0,1] neg_hi:[0,1]
	v_sub_f32_e32 v31, v46, v28
	v_pk_add_f32 v[18:19], v[16:17], v[18:19] neg_lo:[0,1] neg_hi:[0,1]
	v_sub_f32_e32 v55, v39, v48
	v_sub_f32_e32 v57, v49, v51
	;; [unrolled: 1-line block ×3, first 2 shown]
	v_fma_f32 v20, v20, 2.0, -v24
	v_sub_f32_e32 v35, v27, v38
	v_fma_f32 v38, v46, 2.0, -v31
	v_fma_f32 v16, v16, 2.0, -v18
	v_pk_add_f32 v[28:29], v[22:23], v[36:37]
	v_sub_f32_e32 v56, v63, v33
	v_fma_f32 v39, v39, 2.0, -v55
	v_add_f32_e32 v44, v61, v44
	v_fma_f32 v21, v21, 2.0, -v25
	v_sub_f32_e32 v45, v50, v45
	v_fma_f32 v46, v49, 2.0, -v57
	v_fma_f32 v53, v17, 2.0, -v19
	;; [unrolled: 1-line block ×8, first 2 shown]
	v_fmamk_f32 v61, v16, 0xbf3504f3, v20
	v_sub_f32_e32 v48, v39, v46
	v_fmamk_f32 v46, v53, 0xbf3504f3, v21
	v_sub_f32_e32 v38, v40, v38
	v_mul_f32_e32 v50, 0x3f3504f3, v16
	v_mul_f32_e32 v51, 0x3f3504f3, v22
	v_fmac_f32_e32 v61, 0xbf3504f3, v22
	v_sub_f32_e32 v22, v41, v35
	v_pk_mul_f32 v[36:37], v[28:29], s[4:5] op_sel_hi:[1,0]
	v_pk_fma_f32 v[16:17], v[18:19], s[4:5], v[24:25] op_sel_hi:[1,0,1]
	v_sub_f32_e32 v52, v33, v49
	v_fmamk_f32 v49, v23, 0xbf3504f3, v54
	v_fmac_f32_e32 v46, 0xbf3504f3, v23
	v_fma_f32 v60, v40, 2.0, -v38
	v_fma_f32 v63, v41, 2.0, -v22
	v_pk_mul_f32 v[40:41], v[18:19], s[4:5] op_sel_hi:[1,0]
	v_pk_fma_f32 v[16:17], v[28:29], s[4:5], v[16:17] op_sel_hi:[1,0,1] neg_lo:[1,0,0] neg_hi:[1,0,0]
	v_fmac_f32_e32 v49, 0x3f3504f3, v53
	v_fma_f32 v53, v21, 2.0, -v46
	v_sub_f32_e32 v64, v55, v45
	v_add_f32_e32 v21, v44, v37
	v_fma_f32 v20, v20, 2.0, -v61
	v_fma_f32 v18, v24, 2.0, -v16
	v_add_f32_e32 v65, v56, v57
	v_fma_f32 v66, v55, 2.0, -v64
	v_add_f32_e32 v37, v41, v21
	v_fma_f32 v41, v25, 2.0, -v17
	v_fma_f32 v19, v39, 2.0, -v48
	;; [unrolled: 1-line block ×5, first 2 shown]
	v_fmamk_f32 v23, v53, 0xbf6c835e, v20
	v_fmamk_f32 v24, v66, 0xbf3504f3, v63
	;; [unrolled: 1-line block ×4, first 2 shown]
	v_lshl_add_u32 v56, v14, 2, 0
	v_fmamk_f32 v14, v17, 0x3f6c835e, v16
	v_sub_f32_e32 v19, v60, v19
	v_fmac_f32_e32 v23, 0xbec3ef15, v54
	v_fmac_f32_e32 v24, 0xbf3504f3, v67
	;; [unrolled: 1-line block ×3, first 2 shown]
	v_sub_f32_e32 v29, v38, v52
	v_fmac_f32_e32 v39, 0xbf6c835e, v49
	v_fmamk_f32 v45, v64, 0x3f3504f3, v22
	v_fmac_f32_e32 v14, 0xbec3ef15, v37
	v_fma_f32 v21, v60, 2.0, -v19
	v_fma_f32 v20, v20, 2.0, -v23
	v_fma_f32 v25, v63, 2.0, -v24
	v_fma_f32 v18, v18, 2.0, -v28
	v_fma_f32 v38, v38, 2.0, -v29
	v_fma_f32 v44, v61, 2.0, -v39
	v_fmac_f32_e32 v45, 0xbf3504f3, v65
	v_fma_f32 v16, v16, 2.0, -v14
	v_fma_f32 v22, v22, 2.0, -v45
	s_waitcnt lgkmcnt(0)
	; wave barrier
	ds_write2_b32 v56, v21, v20 offset1:18
	ds_write2_b32 v56, v25, v18 offset0:36 offset1:54
	ds_write2_b32 v56, v38, v44 offset0:72 offset1:90
	;; [unrolled: 1-line block ×6, first 2 shown]
	v_add_u32_e32 v16, 0x200, v56
	v_add_u32_e32 v57, 0x600, v47
	ds_write2_b32 v16, v45, v14 offset0:124 offset1:142
	s_waitcnt lgkmcnt(0)
	; wave barrier
	s_waitcnt lgkmcnt(0)
	ds_read2_b32 v[44:45], v47 offset1:54
	ds_read2_b32 v[38:39], v15 offset0:32 offset1:86
	ds_read2_b32 v[18:19], v57 offset0:120 offset1:192
	;; [unrolled: 1-line block ×6, first 2 shown]
	ds_read_b32 v16, v9 offset:864
	v_mul_f32_e32 v43, 0x3f3504f3, v66
	v_mul_f32_e32 v59, 0x3f3504f3, v67
	;; [unrolled: 1-line block ×4, first 2 shown]
	s_and_saveexec_b64 s[4:5], vcc
	s_cbranch_execz .LBB0_35
; %bb.34:
	ds_read_b32 v14, v9 offset:1080
	ds_read_b32 v8, v47 offset:2232
	;; [unrolled: 1-line block ×3, first 2 shown]
.LBB0_35:
	s_or_b64 exec, exec, s[4:5]
	v_mul_f32_e32 v3, v26, v3
	v_fmac_f32_e32 v3, v0, v2
	v_sub_f32_e32 v0, v30, v3
	v_fma_f32 v2, v30, 2.0, -v0
	v_fma_f32 v3, v32, 2.0, -v34
	v_sub_f32_e32 v3, v2, v3
	v_add_f32_e32 v1, v0, v1
	v_fma_f32 v0, v0, 2.0, -v1
	v_add_f32_e32 v30, v3, v31
	v_add_f32_e32 v31, v1, v36
	v_fma_f32 v26, v27, 2.0, -v35
	v_sub_f32_e32 v27, v0, v51
	v_add_f32_e32 v31, v40, v31
	v_fma_f32 v2, v2, 2.0, -v3
	v_add_f32_e32 v27, v50, v27
	v_fma_f32 v1, v1, 2.0, -v31
	v_sub_f32_e32 v26, v2, v26
	v_fma_f32 v0, v0, 2.0, -v27
	v_fmamk_f32 v35, v55, 0xbec3ef15, v1
	v_fma_f32 v2, v2, 2.0, -v26
	v_fma_f32 v3, v3, 2.0, -v30
	;; [unrolled: 1-line block ×3, first 2 shown]
	v_fmamk_f32 v33, v54, 0xbf6c835e, v0
	v_fmac_f32_e32 v35, 0x3f6c835e, v41
	v_add_f32_e32 v41, v30, v42
	v_sub_f32_e32 v32, v2, v32
	v_fmac_f32_e32 v33, 0x3ec3ef15, v53
	v_sub_f32_e32 v34, v3, v59
	v_fmamk_f32 v40, v49, 0x3ec3ef15, v27
	v_add_f32_e32 v41, v15, v41
	v_fmamk_f32 v15, v37, 0x3f6c835e, v31
	v_fma_f32 v2, v2, 2.0, -v32
	v_fma_f32 v0, v0, 2.0, -v33
	v_add_f32_e32 v34, v43, v34
	v_add_f32_e32 v36, v26, v48
	v_fmac_f32_e32 v40, 0x3f6c835e, v46
	v_fmac_f32_e32 v15, 0x3ec3ef15, v17
	v_fma_f32 v3, v3, 2.0, -v34
	v_fma_f32 v1, v1, 2.0, -v35
	;; [unrolled: 1-line block ×6, first 2 shown]
	s_waitcnt lgkmcnt(0)
	; wave barrier
	s_waitcnt lgkmcnt(0)
	ds_write2_b32 v56, v2, v0 offset1:18
	ds_write2_b32 v56, v3, v1 offset0:36 offset1:54
	ds_write2_b32 v56, v26, v27 offset0:72 offset1:90
	;; [unrolled: 1-line block ×6, first 2 shown]
	v_add_u32_e32 v0, 0x200, v56
	ds_write2_b32 v0, v41, v15 offset0:124 offset1:142
	v_add_u32_e32 v0, 0x400, v47
	v_add_u32_e32 v1, 0x800, v47
	s_waitcnt lgkmcnt(0)
	; wave barrier
	s_waitcnt lgkmcnt(0)
	ds_read2_b32 v[42:43], v47 offset1:54
	ds_read2_b32 v[48:49], v0 offset0:32 offset1:86
	ds_read2_b32 v[30:31], v57 offset0:120 offset1:192
	;; [unrolled: 1-line block ×5, first 2 shown]
	v_add_u32_e32 v0, 0xa00, v47
	ds_read2_b32 v[32:33], v0 offset0:98 offset1:152
	ds_read_b32 v17, v9 offset:864
	s_and_saveexec_b64 s[4:5], s[2:3]
	s_xor_b64 s[2:3], exec, s[4:5]
	s_cbranch_execnz .LBB0_39
; %bb.36:
	s_andn2_saveexec_b64 s[2:3], s[2:3]
	s_cbranch_execnz .LBB0_40
.LBB0_37:
	s_or_b64 exec, exec, s[2:3]
	s_and_saveexec_b64 s[2:3], s[0:1]
	s_cbranch_execnz .LBB0_41
.LBB0_38:
	s_endpgm
.LBB0_39:
                                        ; implicit-def: $vgpr9
                                        ; implicit-def: $vgpr47
	s_andn2_saveexec_b64 s[2:3], s[2:3]
	s_cbranch_execz .LBB0_37
.LBB0_40:
	ds_read_b32 v15, v9 offset:1080
	ds_read_b32 v13, v47 offset:2232
	;; [unrolled: 1-line block ×3, first 2 shown]
	s_or_b64 exec, exec, s[2:3]
	s_and_saveexec_b64 s[2:3], s[0:1]
	s_cbranch_execz .LBB0_38
.LBB0_41:
	v_lshlrev_b32_e32 v50, 1, v62
	v_mov_b32_e32 v27, 0
	v_add_u32_e32 v26, 0x1b0, v50
	v_mov_b32_e32 v51, v27
	v_lshl_add_u64 v[46:47], v[26:27], 3, s[8:9]
	v_add_u32_e32 v26, 0x144, v50
	v_lshl_add_u64 v[0:1], v[50:51], 3, s[8:9]
	v_lshl_add_u64 v[50:51], v[26:27], 3, s[8:9]
	v_lshlrev_b32_e32 v26, 1, v58
	global_load_dwordx4 v[0:3], v[0:1], off offset:2280
	v_lshl_add_u64 v[56:57], v[26:27], 3, s[8:9]
	v_lshlrev_b32_e32 v26, 1, v11
	v_lshl_add_u64 v[52:53], v[26:27], 3, s[8:9]
	global_load_dwordx4 v[52:55], v[52:53], off offset:2280
	v_mul_lo_u32 v9, s11, v6
	global_load_dwordx4 v[56:59], v[56:57], off offset:2280
	v_mul_lo_u32 v11, s10, v7
	v_mad_u64_u32 v[6:7], s[0:1], s10, v6, 0
	s_mov_b32 s4, 0x38e38e39
	s_waitcnt lgkmcnt(5)
	v_mov_b32_e32 v60, v31
	v_mov_b32_e32 v64, v19
	;; [unrolled: 1-line block ×5, first 2 shown]
	v_add3_u32 v7, v7, v11, v9
	v_mul_hi_u32 v9, v62, s4
	v_add_u32_e32 v19, 54, v62
	v_lshl_add_u64 v[6:7], v[6:7], 3, s[14:15]
	v_lshrrev_b32_e32 v9, 6, v9
	v_mov_b32_e32 v69, v42
	v_mov_b32_e32 v70, v39
	;; [unrolled: 1-line block ×3, first 2 shown]
	v_mul_hi_u32 v11, v19, s4
	v_lshl_add_u64 v[4:5], v[4:5], 3, v[6:7]
	v_mul_u32_u24_e32 v6, 0x120, v9
	v_mov_b32_e32 v42, v45
	v_lshrrev_b32_e32 v11, 6, v11
	v_sub_u32_e32 v6, v62, v6
	s_movk_i32 s3, 0x120
	s_mov_b32 s2, 0x3f5db3d7
	v_mul_u32_u24_e32 v7, 0x120, v11
	v_lshlrev_b32_e32 v26, 3, v6
	v_sub_u32_e32 v9, v19, v7
	v_lshl_add_u64 v[6:7], v[4:5], 0, v[26:27]
	s_movk_i32 s0, 0x1000
	v_add_co_u32_e64 v78, s[0:1], s0, v6
	s_movk_i32 s5, 0x360
	s_nop 0
	v_addc_co_u32_e64 v79, s[0:1], 0, v7, s[0:1]
	v_mad_u32_u24 v26, v11, s5, v9
	v_lshl_add_u64 v[76:77], v[26:27], 3, v[4:5]
	v_add_u32_e32 v74, 0x120, v26
	v_add_u32_e32 v26, 0x240, v26
	v_lshl_add_u64 v[80:81], v[26:27], 3, v[4:5]
	v_mov_b32_e32 v75, v27
	v_lshl_add_u64 v[74:75], v[74:75], 3, v[4:5]
	s_waitcnt vmcnt(2)
	v_pk_mul_f32 v[48:49], v[48:49], v[0:1] op_sel_hi:[0,1]
	v_pk_mul_f32 v[60:61], v[60:61], v[2:3] op_sel_hi:[0,1]
	v_pk_fma_f32 v[64:65], v[64:65], v[2:3], v[60:61] op_sel:[0,0,1] op_sel_hi:[1,1,0] neg_lo:[0,0,1] neg_hi:[0,0,1]
	v_pk_fma_f32 v[2:3], v[66:67], v[2:3], v[60:61] op_sel:[0,0,1] op_sel_hi:[0,1,0]
	v_pk_fma_f32 v[60:61], v[38:39], v[0:1], v[48:49] op_sel:[0,0,1] op_sel_hi:[1,1,0] neg_lo:[0,0,1] neg_hi:[0,0,1]
	v_pk_fma_f32 v[0:1], v[38:39], v[0:1], v[48:49] op_sel:[0,0,1] op_sel_hi:[0,1,0]
	v_mov_b32_e32 v61, v1
	v_mov_b32_e32 v65, v3
	s_waitcnt vmcnt(1)
	v_pk_mul_f32 v[0:1], v[44:45], v[52:53] op_sel_hi:[0,1]
	s_waitcnt lgkmcnt(4)
	v_pk_mul_f32 v[2:3], v[40:41], v[54:55] op_sel_hi:[0,1]
	v_pk_add_f32 v[38:39], v[68:69], v[60:61]
	v_pk_add_f32 v[44:45], v[60:61], v[64:65]
	v_pk_add_f32 v[48:49], v[60:61], v[64:65] neg_lo:[0,1] neg_hi:[0,1]
	v_pk_fma_f32 v[60:61], v[70:71], v[52:53], v[0:1] op_sel:[0,0,1] op_sel_hi:[1,1,0] neg_lo:[0,0,1] neg_hi:[0,0,1]
	v_pk_fma_f32 v[52:53], v[72:73], v[52:53], v[0:1] op_sel:[0,0,1] op_sel_hi:[0,1,0]
	v_pk_fma_f32 v[66:67], v[28:29], v[54:55], v[2:3] op_sel:[0,0,1] op_sel_hi:[1,1,0] neg_lo:[0,0,1] neg_hi:[0,0,1]
	v_pk_fma_f32 v[54:55], v[28:29], v[54:55], v[2:3] op_sel:[0,0,1] op_sel_hi:[0,1,0]
	global_load_dwordx4 v[0:3], v[50:51], off offset:2280
	v_pk_add_f32 v[38:39], v[38:39], v[64:65]
	v_pk_fma_f32 v[44:45], v[44:45], 0.5, v[68:69] op_sel_hi:[1,0,1] neg_lo:[1,0,0] neg_hi:[1,0,0]
	v_pk_mul_f32 v[48:49], v[48:49], s[2:3] op_sel_hi:[1,0]
	global_store_dwordx2 v[6:7], v[38:39], off
	v_pk_add_f32 v[38:39], v[44:45], v[48:49] op_sel:[0,1] op_sel_hi:[1,0]
	v_pk_add_f32 v[44:45], v[44:45], v[48:49] op_sel:[0,1] op_sel_hi:[1,0] neg_lo:[0,1] neg_hi:[0,1]
	v_mov_b32_e32 v61, v53
	v_mov_b32_e32 v67, v55
	v_mov_b32_e32 v48, v38
	v_mov_b32_e32 v49, v45
	v_mov_b32_e32 v45, v39
	v_pk_add_f32 v[38:39], v[60:61], v[66:67]
	global_store_dwordx2 v[6:7], v[48:49], off offset:2304
	global_store_dwordx2 v[78:79], v[44:45], off offset:512
	v_pk_fma_f32 v[6:7], v[38:39], 0.5, v[42:43] op_sel_hi:[1,0,1] neg_lo:[1,0,0] neg_hi:[1,0,0]
	v_pk_add_f32 v[38:39], v[60:61], v[66:67] neg_lo:[0,1] neg_hi:[0,1]
	s_waitcnt vmcnt(4) lgkmcnt(2)
	v_pk_mul_f32 v[48:49], v[36:37], v[56:57] op_sel_hi:[0,1]
	v_pk_mul_f32 v[38:39], v[38:39], s[2:3] op_sel_hi:[1,0]
	v_pk_fma_f32 v[50:51], v[24:25], v[56:57], v[48:49] op_sel:[0,0,1] op_sel_hi:[1,1,0] neg_lo:[0,0,1] neg_hi:[0,0,1]
	v_pk_add_f32 v[44:45], v[6:7], v[38:39] op_sel:[0,1] op_sel_hi:[1,0] neg_lo:[0,1] neg_hi:[0,1]
	v_pk_add_f32 v[6:7], v[6:7], v[38:39] op_sel:[0,1] op_sel_hi:[1,0]
	v_pk_add_f32 v[38:39], v[42:43], v[60:61]
	v_pk_fma_f32 v[48:49], v[24:25], v[56:57], v[48:49] op_sel:[0,0,1] op_sel_hi:[0,1,0]
	v_pk_add_f32 v[38:39], v[38:39], v[66:67]
	global_store_dwordx2 v[76:77], v[38:39], off
	v_mov_b32_e32 v39, v45
	v_mov_b32_e32 v45, v7
	global_store_dwordx2 v[80:81], v[44:45], off
	global_load_dwordx4 v[42:45], v[46:47], off offset:2280
	v_mov_b32_e32 v38, v6
	v_add_u32_e32 v6, 0x6c, v62
	v_mul_hi_u32 v7, v6, s4
	v_lshrrev_b32_e32 v7, 6, v7
	v_mul_u32_u24_e32 v9, 0x120, v7
	v_sub_u32_e32 v6, v6, v9
	v_mad_u32_u24 v26, v7, s5, v6
	global_store_dwordx2 v[74:75], v[38:39], off
	v_lshl_add_u64 v[6:7], v[26:27], 3, v[4:5]
	v_add_u32_e32 v38, 0x120, v26
	v_add_u32_e32 v26, 0x240, v26
	v_mov_b32_e32 v24, v41
	v_lshl_add_u64 v[46:47], v[26:27], 3, v[4:5]
	v_pk_mul_f32 v[40:41], v[24:25], v[58:59] op_sel_hi:[0,1]
	v_mov_b32_e32 v24, v29
	v_mov_b32_e32 v26, v29
	v_pk_fma_f32 v[28:29], v[24:25], v[58:59], v[40:41] op_sel:[0,0,1] op_sel_hi:[1,1,0] neg_lo:[0,0,1] neg_hi:[0,0,1]
	v_pk_fma_f32 v[40:41], v[26:27], v[58:59], v[40:41] op_sel:[0,0,1] op_sel_hi:[0,1,0]
	v_mov_b32_e32 v51, v49
	v_mov_b32_e32 v29, v41
	v_pk_add_f32 v[40:41], v[50:51], v[28:29]
	v_mov_b32_e32 v48, v22
	v_mov_b32_e32 v49, v34
	v_pk_add_f32 v[52:53], v[50:51], v[28:29] neg_lo:[0,1] neg_hi:[0,1]
	v_pk_fma_f32 v[40:41], v[40:41], 0.5, v[48:49] op_sel_hi:[1,0,1] neg_lo:[1,0,0] neg_hi:[1,0,0]
	v_pk_mul_f32 v[52:53], v[52:53], s[2:3] op_sel_hi:[1,0]
	v_pk_add_f32 v[48:49], v[48:49], v[50:51]
	v_mov_b32_e32 v22, v37
	v_mov_b32_e32 v39, v27
	v_pk_add_f32 v[54:55], v[40:41], v[52:53] op_sel:[0,1] op_sel_hi:[1,0] neg_lo:[0,1] neg_hi:[0,1]
	v_pk_add_f32 v[40:41], v[40:41], v[52:53] op_sel:[0,1] op_sel_hi:[1,0]
	v_pk_add_f32 v[28:29], v[48:49], v[28:29]
	v_mov_b32_e32 v24, v25
	v_lshl_add_u64 v[38:39], v[38:39], 3, v[4:5]
	global_store_dwordx2 v[6:7], v[28:29], off
	v_mov_b32_e32 v6, v40
	v_mov_b32_e32 v7, v55
	;; [unrolled: 1-line block ×3, first 2 shown]
	global_store_dwordx2 v[38:39], v[6:7], off
	v_add_u32_e32 v6, 0xa2, v62
	v_mul_hi_u32 v7, v6, s4
	v_lshrrev_b32_e32 v7, 6, v7
	v_mul_u32_u24_e32 v9, 0x120, v7
	v_mov_b32_e32 v34, v23
	v_sub_u32_e32 v6, v6, v9
	v_mad_u32_u24 v26, v7, s5, v6
	v_lshl_add_u64 v[6:7], v[26:27], 3, v[4:5]
	v_add_u32_e32 v28, 0x120, v26
	v_add_u32_e32 v26, 0x240, v26
	global_store_dwordx2 v[46:47], v[54:55], off
	v_lshl_add_u64 v[38:39], v[26:27], 3, v[4:5]
	s_waitcnt vmcnt(10)
	v_pk_mul_f32 v[36:37], v[22:23], v[0:1] op_sel_hi:[0,1]
	v_mov_b32_e32 v22, v25
	v_pk_fma_f32 v[40:41], v[22:23], v[0:1], v[36:37] op_sel:[0,0,1] op_sel_hi:[1,1,0] neg_lo:[0,0,1] neg_hi:[0,0,1]
	v_pk_fma_f32 v[0:1], v[24:25], v[0:1], v[36:37] op_sel:[0,0,1] op_sel_hi:[0,1,0]
	v_mov_b32_e32 v41, v1
	s_waitcnt lgkmcnt(1)
	v_pk_mul_f32 v[0:1], v[32:33], v[2:3] op_sel_hi:[0,1]
	v_pk_fma_f32 v[24:25], v[20:21], v[2:3], v[0:1] op_sel:[0,0,1] op_sel_hi:[1,1,0] neg_lo:[0,0,1] neg_hi:[0,0,1]
	v_pk_fma_f32 v[0:1], v[20:21], v[2:3], v[0:1] op_sel:[0,0,1] op_sel_hi:[0,1,0]
	v_mov_b32_e32 v25, v1
	v_pk_add_f32 v[0:1], v[40:41], v[24:25]
	v_pk_add_f32 v[2:3], v[40:41], v[24:25] neg_lo:[0,1] neg_hi:[0,1]
	v_pk_fma_f32 v[0:1], v[0:1], 0.5, v[34:35] op_sel_hi:[1,0,1] neg_lo:[1,0,0] neg_hi:[1,0,0]
	v_pk_mul_f32 v[2:3], v[2:3], s[2:3] op_sel_hi:[1,0]
	v_mov_b32_e32 v29, v27
	v_pk_add_f32 v[22:23], v[0:1], v[2:3] op_sel:[0,1] op_sel_hi:[1,0] neg_lo:[0,1] neg_hi:[0,1]
	v_pk_add_f32 v[0:1], v[0:1], v[2:3] op_sel:[0,1] op_sel_hi:[1,0]
	v_pk_add_f32 v[2:3], v[34:35], v[40:41]
	v_mov_b32_e32 v20, v21
	v_pk_add_f32 v[2:3], v[2:3], v[24:25]
	global_store_dwordx2 v[6:7], v[2:3], off
	v_mov_b32_e32 v3, v23
	v_mov_b32_e32 v23, v1
	global_store_dwordx2 v[38:39], v[22:23], off
	v_mov_b32_e32 v2, v0
	v_add_u32_e32 v0, 0xd8, v62
	v_mul_hi_u32 v1, v0, s4
	v_lshl_add_u64 v[28:29], v[28:29], 3, v[4:5]
	v_lshrrev_b32_e32 v1, 6, v1
	s_waitcnt vmcnt(6)
	v_pk_mul_f32 v[22:23], v[30:31], v[42:43] op_sel_hi:[0,1]
	v_pk_fma_f32 v[24:25], v[18:19], v[42:43], v[22:23] op_sel:[0,0,1] op_sel_hi:[1,1,0] neg_lo:[0,0,1] neg_hi:[0,0,1]
	v_pk_fma_f32 v[18:19], v[18:19], v[42:43], v[22:23] op_sel:[0,0,1] op_sel_hi:[0,1,0]
	v_mov_b32_e32 v18, v33
	v_mov_b32_e32 v25, v19
	v_pk_mul_f32 v[18:19], v[18:19], v[44:45] op_sel_hi:[0,1]
	v_mov_b32_e32 v22, v21
	v_pk_fma_f32 v[20:21], v[20:21], v[44:45], v[18:19] op_sel:[0,0,1] op_sel_hi:[1,1,0] neg_lo:[0,0,1] neg_hi:[0,0,1]
	v_pk_fma_f32 v[18:19], v[22:23], v[44:45], v[18:19] op_sel:[0,0,1] op_sel_hi:[0,1,0]
	global_store_dwordx2 v[28:29], v[2:3], off
	v_mul_u32_u24_e32 v2, 0x120, v1
	v_mov_b32_e32 v21, v19
	v_sub_u32_e32 v0, v0, v2
	v_pk_add_f32 v[18:19], v[24:25], v[20:21]
	v_pk_add_f32 v[22:23], v[24:25], v[20:21] neg_lo:[0,1] neg_hi:[0,1]
	v_mad_u32_u24 v26, v1, s5, v0
	s_waitcnt lgkmcnt(0)
	v_pk_fma_f32 v[18:19], v[18:19], 0.5, v[16:17] op_sel_hi:[1,0,1] neg_lo:[1,0,0] neg_hi:[1,0,0]
	v_pk_mul_f32 v[22:23], v[22:23], s[2:3] op_sel_hi:[1,0]
	v_pk_add_f32 v[16:17], v[16:17], v[24:25]
	v_lshl_add_u64 v[0:1], v[26:27], 3, v[4:5]
	v_add_u32_e32 v2, 0x120, v26
	v_mov_b32_e32 v3, v27
	v_pk_add_f32 v[28:29], v[18:19], v[22:23] op_sel:[0,1] op_sel_hi:[1,0] neg_lo:[0,1] neg_hi:[0,1]
	v_pk_add_f32 v[18:19], v[18:19], v[22:23] op_sel:[0,1] op_sel_hi:[1,0]
	v_pk_add_f32 v[16:17], v[16:17], v[20:21]
	v_lshl_add_u64 v[2:3], v[2:3], 3, v[4:5]
	global_store_dwordx2 v[0:1], v[16:17], off
	v_mov_b32_e32 v0, v18
	v_mov_b32_e32 v1, v29
	v_add_u32_e32 v26, 0x240, v26
	global_store_dwordx2 v[2:3], v[0:1], off
	v_add_u32_e32 v0, 0x10e, v62
	v_lshl_add_u64 v[6:7], v[26:27], 3, v[4:5]
	v_mov_b32_e32 v29, v19
	v_cmp_gt_u32_e64 s[0:1], s3, v0
	global_store_dwordx2 v[6:7], v[28:29], off
	s_and_b64 exec, exec, s[0:1]
	s_cbranch_execz .LBB0_38
; %bb.42:
	v_not_b32_e32 v1, 17
	v_mov_b32_e32 v2, 0x10e
	v_cndmask_b32_e32 v1, v1, v2, vcc
	v_add_lshl_u32 v26, v62, v1, 1
	v_lshl_add_u64 v[2:3], v[26:27], 3, s[8:9]
	global_load_dwordx4 v[16:19], v[2:3], off offset:2280
	v_mov_b32_e32 v1, v27
	v_lshl_add_u64 v[0:1], v[0:1], 3, v[4:5]
	v_add_u32_e32 v26, 0x22e, v62
	v_lshl_add_u64 v[2:3], v[26:27], 3, v[4:5]
	v_add_u32_e32 v26, 0x34e, v62
	v_lshl_add_u64 v[4:5], v[26:27], 3, v[4:5]
	s_waitcnt vmcnt(0)
	v_pk_mul_f32 v[6:7], v[12:13], v[16:17] op_sel:[1,0]
	v_pk_mul_f32 v[12:13], v[12:13], v[18:19] op_sel_hi:[0,1]
	v_pk_fma_f32 v[20:21], v[8:9], v[16:17], v[6:7] op_sel:[0,0,1] op_sel_hi:[1,1,0] neg_lo:[0,0,1] neg_hi:[0,0,1]
	v_pk_fma_f32 v[6:7], v[8:9], v[16:17], v[6:7] op_sel:[0,0,1] op_sel_hi:[0,1,0]
	v_pk_fma_f32 v[8:9], v[10:11], v[18:19], v[12:13] op_sel:[0,0,1] op_sel_hi:[1,1,0] neg_lo:[0,0,1] neg_hi:[0,0,1]
	v_pk_fma_f32 v[10:11], v[10:11], v[18:19], v[12:13] op_sel:[0,0,1] op_sel_hi:[0,1,0]
	v_mov_b32_e32 v21, v7
	v_mov_b32_e32 v9, v11
	v_pk_add_f32 v[6:7], v[20:21], v[8:9]
	v_pk_add_f32 v[10:11], v[20:21], v[8:9] neg_lo:[0,1] neg_hi:[0,1]
	v_pk_add_f32 v[12:13], v[14:15], v[20:21]
	v_pk_fma_f32 v[6:7], -0.5, v[6:7], v[14:15] op_sel_hi:[0,1,1]
	v_pk_mul_f32 v[10:11], v[10:11], s[2:3] op_sel_hi:[1,0]
	v_pk_add_f32 v[8:9], v[12:13], v[8:9]
	v_pk_add_f32 v[12:13], v[6:7], v[10:11] op_sel:[0,1] op_sel_hi:[1,0]
	v_pk_add_f32 v[6:7], v[6:7], v[10:11] op_sel:[0,1] op_sel_hi:[1,0] neg_lo:[0,1] neg_hi:[0,1]
	global_store_dwordx2 v[0:1], v[8:9], off
	v_mov_b32_e32 v0, v12
	v_mov_b32_e32 v1, v7
	;; [unrolled: 1-line block ×3, first 2 shown]
	global_store_dwordx2 v[2:3], v[0:1], off
	global_store_dwordx2 v[4:5], v[6:7], off
	s_endpgm
	.section	.rodata,"a",@progbits
	.p2align	6, 0x0
	.amdhsa_kernel fft_rtc_fwd_len864_factors_3_6_16_3_wgs_54_tpt_54_halfLds_sp_op_CI_CI_unitstride_sbrr_dirReg
		.amdhsa_group_segment_fixed_size 0
		.amdhsa_private_segment_fixed_size 0
		.amdhsa_kernarg_size 104
		.amdhsa_user_sgpr_count 2
		.amdhsa_user_sgpr_dispatch_ptr 0
		.amdhsa_user_sgpr_queue_ptr 0
		.amdhsa_user_sgpr_kernarg_segment_ptr 1
		.amdhsa_user_sgpr_dispatch_id 0
		.amdhsa_user_sgpr_kernarg_preload_length 0
		.amdhsa_user_sgpr_kernarg_preload_offset 0
		.amdhsa_user_sgpr_private_segment_size 0
		.amdhsa_uses_dynamic_stack 0
		.amdhsa_enable_private_segment 0
		.amdhsa_system_sgpr_workgroup_id_x 1
		.amdhsa_system_sgpr_workgroup_id_y 0
		.amdhsa_system_sgpr_workgroup_id_z 0
		.amdhsa_system_sgpr_workgroup_info 0
		.amdhsa_system_vgpr_workitem_id 0
		.amdhsa_next_free_vgpr 86
		.amdhsa_next_free_sgpr 28
		.amdhsa_accum_offset 88
		.amdhsa_reserve_vcc 1
		.amdhsa_float_round_mode_32 0
		.amdhsa_float_round_mode_16_64 0
		.amdhsa_float_denorm_mode_32 3
		.amdhsa_float_denorm_mode_16_64 3
		.amdhsa_dx10_clamp 1
		.amdhsa_ieee_mode 1
		.amdhsa_fp16_overflow 0
		.amdhsa_tg_split 0
		.amdhsa_exception_fp_ieee_invalid_op 0
		.amdhsa_exception_fp_denorm_src 0
		.amdhsa_exception_fp_ieee_div_zero 0
		.amdhsa_exception_fp_ieee_overflow 0
		.amdhsa_exception_fp_ieee_underflow 0
		.amdhsa_exception_fp_ieee_inexact 0
		.amdhsa_exception_int_div_zero 0
	.end_amdhsa_kernel
	.text
.Lfunc_end0:
	.size	fft_rtc_fwd_len864_factors_3_6_16_3_wgs_54_tpt_54_halfLds_sp_op_CI_CI_unitstride_sbrr_dirReg, .Lfunc_end0-fft_rtc_fwd_len864_factors_3_6_16_3_wgs_54_tpt_54_halfLds_sp_op_CI_CI_unitstride_sbrr_dirReg
                                        ; -- End function
	.section	.AMDGPU.csdata,"",@progbits
; Kernel info:
; codeLenInByte = 8784
; NumSgprs: 34
; NumVgprs: 86
; NumAgprs: 0
; TotalNumVgprs: 86
; ScratchSize: 0
; MemoryBound: 0
; FloatMode: 240
; IeeeMode: 1
; LDSByteSize: 0 bytes/workgroup (compile time only)
; SGPRBlocks: 4
; VGPRBlocks: 10
; NumSGPRsForWavesPerEU: 34
; NumVGPRsForWavesPerEU: 86
; AccumOffset: 88
; Occupancy: 5
; WaveLimiterHint : 1
; COMPUTE_PGM_RSRC2:SCRATCH_EN: 0
; COMPUTE_PGM_RSRC2:USER_SGPR: 2
; COMPUTE_PGM_RSRC2:TRAP_HANDLER: 0
; COMPUTE_PGM_RSRC2:TGID_X_EN: 1
; COMPUTE_PGM_RSRC2:TGID_Y_EN: 0
; COMPUTE_PGM_RSRC2:TGID_Z_EN: 0
; COMPUTE_PGM_RSRC2:TIDIG_COMP_CNT: 0
; COMPUTE_PGM_RSRC3_GFX90A:ACCUM_OFFSET: 21
; COMPUTE_PGM_RSRC3_GFX90A:TG_SPLIT: 0
	.text
	.p2alignl 6, 3212836864
	.fill 256, 4, 3212836864
	.type	__hip_cuid_3b61f196f738143f,@object ; @__hip_cuid_3b61f196f738143f
	.section	.bss,"aw",@nobits
	.globl	__hip_cuid_3b61f196f738143f
__hip_cuid_3b61f196f738143f:
	.byte	0                               ; 0x0
	.size	__hip_cuid_3b61f196f738143f, 1

	.ident	"AMD clang version 19.0.0git (https://github.com/RadeonOpenCompute/llvm-project roc-6.4.0 25133 c7fe45cf4b819c5991fe208aaa96edf142730f1d)"
	.section	".note.GNU-stack","",@progbits
	.addrsig
	.addrsig_sym __hip_cuid_3b61f196f738143f
	.amdgpu_metadata
---
amdhsa.kernels:
  - .agpr_count:     0
    .args:
      - .actual_access:  read_only
        .address_space:  global
        .offset:         0
        .size:           8
        .value_kind:     global_buffer
      - .offset:         8
        .size:           8
        .value_kind:     by_value
      - .actual_access:  read_only
        .address_space:  global
        .offset:         16
        .size:           8
        .value_kind:     global_buffer
      - .actual_access:  read_only
        .address_space:  global
        .offset:         24
        .size:           8
        .value_kind:     global_buffer
      - .actual_access:  read_only
        .address_space:  global
        .offset:         32
        .size:           8
        .value_kind:     global_buffer
      - .offset:         40
        .size:           8
        .value_kind:     by_value
      - .actual_access:  read_only
        .address_space:  global
        .offset:         48
        .size:           8
        .value_kind:     global_buffer
      - .actual_access:  read_only
        .address_space:  global
        .offset:         56
        .size:           8
        .value_kind:     global_buffer
      - .offset:         64
        .size:           4
        .value_kind:     by_value
      - .actual_access:  read_only
        .address_space:  global
        .offset:         72
        .size:           8
        .value_kind:     global_buffer
      - .actual_access:  read_only
        .address_space:  global
        .offset:         80
        .size:           8
        .value_kind:     global_buffer
      - .actual_access:  read_only
        .address_space:  global
        .offset:         88
        .size:           8
        .value_kind:     global_buffer
      - .actual_access:  write_only
        .address_space:  global
        .offset:         96
        .size:           8
        .value_kind:     global_buffer
    .group_segment_fixed_size: 0
    .kernarg_segment_align: 8
    .kernarg_segment_size: 104
    .language:       OpenCL C
    .language_version:
      - 2
      - 0
    .max_flat_workgroup_size: 54
    .name:           fft_rtc_fwd_len864_factors_3_6_16_3_wgs_54_tpt_54_halfLds_sp_op_CI_CI_unitstride_sbrr_dirReg
    .private_segment_fixed_size: 0
    .sgpr_count:     34
    .sgpr_spill_count: 0
    .symbol:         fft_rtc_fwd_len864_factors_3_6_16_3_wgs_54_tpt_54_halfLds_sp_op_CI_CI_unitstride_sbrr_dirReg.kd
    .uniform_work_group_size: 1
    .uses_dynamic_stack: false
    .vgpr_count:     86
    .vgpr_spill_count: 0
    .wavefront_size: 64
amdhsa.target:   amdgcn-amd-amdhsa--gfx950
amdhsa.version:
  - 1
  - 2
...

	.end_amdgpu_metadata
